;; amdgpu-corpus repo=zjin-lcf/HeCBench kind=compiled arch=gfx906 opt=O3
	.amdgcn_target "amdgcn-amd-amdhsa--gfx906"
	.amdhsa_code_object_version 6
	.text
	.protected	_Z9dwtHaar1DPKfPfS1_jjjj ; -- Begin function _Z9dwtHaar1DPKfPfS1_jjjj
	.globl	_Z9dwtHaar1DPKfPfS1_jjjj
	.p2align	8
	.type	_Z9dwtHaar1DPKfPfS1_jjjj,@function
_Z9dwtHaar1DPKfPfS1_jjjj:               ; @_Z9dwtHaar1DPKfPfS1_jjjj
; %bb.0:
	s_load_dword s7, s[4:5], 0x34
	s_load_dwordx2 s[8:9], s[4:5], 0x0
	s_load_dwordx4 s[0:3], s[4:5], 0x18
	v_lshlrev_b32_e32 v1, 2, v0
	s_waitcnt lgkmcnt(0)
	s_and_b32 s7, s7, 0xffff
	s_mul_hi_u32 s11, s6, s7
	s_mul_i32 s10, s6, s7
	s_lshl_b64 s[10:11], s[10:11], 3
	s_add_u32 s10, s8, s10
	s_addc_u32 s11, s9, s11
	s_lshl_b32 s8, s7, 2
	s_add_u32 s12, s10, s8
	s_addc_u32 s13, s11, 0
	global_load_dword v3, v1, s[10:11]
	global_load_dword v2, v1, s[12:13]
	s_cmp_lg_u32 s2, 0
	s_mov_b32 s7, 0
	s_cbranch_scc1 .LBB0_2
; %bb.1:
	v_cvt_f32_u32_e32 v4, s1
	s_cmp_eq_u32 s1, 0
	s_cselect_b64 vcc, -1, 0
	v_rsq_f32_e32 v4, v4
	v_mul_f32_e32 v5, 0x45800000, v4
	v_cndmask_b32_e32 v4, v4, v5, vcc
	s_waitcnt vmcnt(1)
	v_mul_f32_e32 v3, v4, v3
	s_waitcnt vmcnt(0)
	v_mul_f32_e32 v2, v4, v2
.LBB0_2:
	v_add_u32_e32 v5, 0, v1
	s_add_i32 s2, s8, 0
	s_min_u32 s8, s0, s3
	s_waitcnt vmcnt(1)
	ds_write_b32 v5, v3
	v_add_u32_e32 v3, s2, v1
	s_cmp_eq_u32 s8, 0
	s_waitcnt vmcnt(0)
	ds_write_b32 v3, v2
	s_waitcnt lgkmcnt(0)
	s_barrier
	s_cbranch_scc1 .LBB0_9
; %bb.3:
	s_load_dwordx2 s[2:3], s[4:5], 0x8
	s_lshr_b32 s0, s1, 1
	s_lshl_b32 s1, 1, s8
	s_lshr_b32 s9, s1, 31
	s_add_i32 s1, s1, s9
	s_ashr_i32 s9, s1, 1
	v_mov_b32_e32 v6, s0
	v_add_u32_e32 v7, v5, v1
	v_mov_b32_e32 v2, 0
                                        ; implicit-def: $vgpr4
	s_branch .LBB0_5
.LBB0_4:                                ;   in Loop: Header=BB0_5 Depth=1
	s_or_b64 exec, exec, s[0:1]
	s_lshr_b32 s9, s9, 1
	s_add_i32 s8, s8, -1
	s_cmp_eq_u32 s8, 0
	s_waitcnt vmcnt(0) lgkmcnt(0)
	s_barrier
	s_cbranch_scc1 .LBB0_9
.LBB0_5:                                ; =>This Inner Loop Header: Depth=1
	v_cmp_gt_u32_e32 vcc, s9, v0
	s_and_saveexec_b64 s[0:1], vcc
; %bb.6:                                ;   in Loop: Header=BB0_5 Depth=1
	ds_read2_b32 v[3:4], v7 offset1:1
; %bb.7:                                ;   in Loop: Header=BB0_5 Depth=1
	s_or_b64 exec, exec, s[0:1]
	s_waitcnt lgkmcnt(0)
	s_barrier
	s_and_saveexec_b64 s[0:1], vcc
	s_cbranch_execz .LBB0_4
; %bb.8:                                ;   in Loop: Header=BB0_5 Depth=1
	v_add_f32_e32 v1, v3, v4
	v_mul_f32_e32 v1, 0x3f350481, v1
	s_mul_i32 s10, s9, s6
	ds_write_b32 v5, v1
	v_add3_u32 v1, v6, v0, s10
	v_sub_f32_e32 v8, v3, v4
	v_mul_f32_e32 v10, 0x3f350481, v8
	v_lshlrev_b64 v[8:9], 2, v[1:2]
	v_mov_b32_e32 v1, s3
	v_add_co_u32_e32 v8, vcc, s2, v8
	v_addc_co_u32_e32 v9, vcc, v1, v9, vcc
	v_lshrrev_b32_e32 v6, 1, v6
	global_store_dword v[8:9], v10, off
	s_branch .LBB0_4
.LBB0_9:
	v_cmp_eq_u32_e32 vcc, 0, v0
	s_and_saveexec_b64 s[0:1], vcc
	s_cbranch_execz .LBB0_11
; %bb.10:
	s_load_dwordx2 s[0:1], s[4:5], 0x10
	v_mov_b32_e32 v0, 0
	ds_read_b32 v1, v0
	s_lshl_b64 s[2:3], s[6:7], 2
	s_waitcnt lgkmcnt(0)
	s_add_u32 s0, s0, s2
	s_addc_u32 s1, s1, s3
	global_store_dword v0, v1, s[0:1]
.LBB0_11:
	s_endpgm
	.section	.rodata,"a",@progbits
	.p2align	6, 0x0
	.amdhsa_kernel _Z9dwtHaar1DPKfPfS1_jjjj
		.amdhsa_group_segment_fixed_size 0
		.amdhsa_private_segment_fixed_size 0
		.amdhsa_kernarg_size 296
		.amdhsa_user_sgpr_count 6
		.amdhsa_user_sgpr_private_segment_buffer 1
		.amdhsa_user_sgpr_dispatch_ptr 0
		.amdhsa_user_sgpr_queue_ptr 0
		.amdhsa_user_sgpr_kernarg_segment_ptr 1
		.amdhsa_user_sgpr_dispatch_id 0
		.amdhsa_user_sgpr_flat_scratch_init 0
		.amdhsa_user_sgpr_private_segment_size 0
		.amdhsa_uses_dynamic_stack 0
		.amdhsa_system_sgpr_private_segment_wavefront_offset 0
		.amdhsa_system_sgpr_workgroup_id_x 1
		.amdhsa_system_sgpr_workgroup_id_y 0
		.amdhsa_system_sgpr_workgroup_id_z 0
		.amdhsa_system_sgpr_workgroup_info 0
		.amdhsa_system_vgpr_workitem_id 0
		.amdhsa_next_free_vgpr 11
		.amdhsa_next_free_sgpr 14
		.amdhsa_reserve_vcc 1
		.amdhsa_reserve_flat_scratch 0
		.amdhsa_float_round_mode_32 0
		.amdhsa_float_round_mode_16_64 0
		.amdhsa_float_denorm_mode_32 3
		.amdhsa_float_denorm_mode_16_64 3
		.amdhsa_dx10_clamp 1
		.amdhsa_ieee_mode 1
		.amdhsa_fp16_overflow 0
		.amdhsa_exception_fp_ieee_invalid_op 0
		.amdhsa_exception_fp_denorm_src 0
		.amdhsa_exception_fp_ieee_div_zero 0
		.amdhsa_exception_fp_ieee_overflow 0
		.amdhsa_exception_fp_ieee_underflow 0
		.amdhsa_exception_fp_ieee_inexact 0
		.amdhsa_exception_int_div_zero 0
	.end_amdhsa_kernel
	.text
.Lfunc_end0:
	.size	_Z9dwtHaar1DPKfPfS1_jjjj, .Lfunc_end0-_Z9dwtHaar1DPKfPfS1_jjjj
                                        ; -- End function
	.set _Z9dwtHaar1DPKfPfS1_jjjj.num_vgpr, 11
	.set _Z9dwtHaar1DPKfPfS1_jjjj.num_agpr, 0
	.set _Z9dwtHaar1DPKfPfS1_jjjj.numbered_sgpr, 14
	.set _Z9dwtHaar1DPKfPfS1_jjjj.num_named_barrier, 0
	.set _Z9dwtHaar1DPKfPfS1_jjjj.private_seg_size, 0
	.set _Z9dwtHaar1DPKfPfS1_jjjj.uses_vcc, 1
	.set _Z9dwtHaar1DPKfPfS1_jjjj.uses_flat_scratch, 0
	.set _Z9dwtHaar1DPKfPfS1_jjjj.has_dyn_sized_stack, 0
	.set _Z9dwtHaar1DPKfPfS1_jjjj.has_recursion, 0
	.set _Z9dwtHaar1DPKfPfS1_jjjj.has_indirect_call, 0
	.section	.AMDGPU.csdata,"",@progbits
; Kernel info:
; codeLenInByte = 448
; TotalNumSgprs: 18
; NumVgprs: 11
; ScratchSize: 0
; MemoryBound: 0
; FloatMode: 240
; IeeeMode: 1
; LDSByteSize: 0 bytes/workgroup (compile time only)
; SGPRBlocks: 2
; VGPRBlocks: 2
; NumSGPRsForWavesPerEU: 18
; NumVGPRsForWavesPerEU: 11
; Occupancy: 10
; WaveLimiterHint : 0
; COMPUTE_PGM_RSRC2:SCRATCH_EN: 0
; COMPUTE_PGM_RSRC2:USER_SGPR: 6
; COMPUTE_PGM_RSRC2:TRAP_HANDLER: 0
; COMPUTE_PGM_RSRC2:TGID_X_EN: 1
; COMPUTE_PGM_RSRC2:TGID_Y_EN: 0
; COMPUTE_PGM_RSRC2:TGID_Z_EN: 0
; COMPUTE_PGM_RSRC2:TIDIG_COMP_CNT: 0
	.section	.AMDGPU.gpr_maximums,"",@progbits
	.set amdgpu.max_num_vgpr, 0
	.set amdgpu.max_num_agpr, 0
	.set amdgpu.max_num_sgpr, 0
	.section	.AMDGPU.csdata,"",@progbits
	.type	__hip_cuid_3e26f1671cb87478,@object ; @__hip_cuid_3e26f1671cb87478
	.section	.bss,"aw",@nobits
	.globl	__hip_cuid_3e26f1671cb87478
__hip_cuid_3e26f1671cb87478:
	.byte	0                               ; 0x0
	.size	__hip_cuid_3e26f1671cb87478, 1

	.ident	"AMD clang version 22.0.0git (https://github.com/RadeonOpenCompute/llvm-project roc-7.2.4 26084 f58b06dce1f9c15707c5f808fd002e18c2accf7e)"
	.section	".note.GNU-stack","",@progbits
	.addrsig
	.addrsig_sym __hip_cuid_3e26f1671cb87478
	.amdgpu_metadata
---
amdhsa.kernels:
  - .args:
      - .actual_access:  read_only
        .address_space:  global
        .offset:         0
        .size:           8
        .value_kind:     global_buffer
      - .actual_access:  write_only
        .address_space:  global
        .offset:         8
        .size:           8
        .value_kind:     global_buffer
      - .actual_access:  write_only
        .address_space:  global
        .offset:         16
        .size:           8
        .value_kind:     global_buffer
      - .offset:         24
        .size:           4
        .value_kind:     by_value
      - .offset:         28
        .size:           4
        .value_kind:     by_value
      - .offset:         32
        .size:           4
        .value_kind:     by_value
      - .offset:         36
        .size:           4
        .value_kind:     by_value
      - .offset:         40
        .size:           4
        .value_kind:     hidden_block_count_x
      - .offset:         44
        .size:           4
        .value_kind:     hidden_block_count_y
      - .offset:         48
        .size:           4
        .value_kind:     hidden_block_count_z
      - .offset:         52
        .size:           2
        .value_kind:     hidden_group_size_x
      - .offset:         54
        .size:           2
        .value_kind:     hidden_group_size_y
      - .offset:         56
        .size:           2
        .value_kind:     hidden_group_size_z
      - .offset:         58
        .size:           2
        .value_kind:     hidden_remainder_x
      - .offset:         60
        .size:           2
        .value_kind:     hidden_remainder_y
      - .offset:         62
        .size:           2
        .value_kind:     hidden_remainder_z
      - .offset:         80
        .size:           8
        .value_kind:     hidden_global_offset_x
      - .offset:         88
        .size:           8
        .value_kind:     hidden_global_offset_y
      - .offset:         96
        .size:           8
        .value_kind:     hidden_global_offset_z
      - .offset:         104
        .size:           2
        .value_kind:     hidden_grid_dims
      - .offset:         160
        .size:           4
        .value_kind:     hidden_dynamic_lds_size
    .group_segment_fixed_size: 0
    .kernarg_segment_align: 8
    .kernarg_segment_size: 296
    .language:       OpenCL C
    .language_version:
      - 2
      - 0
    .max_flat_workgroup_size: 1024
    .name:           _Z9dwtHaar1DPKfPfS1_jjjj
    .private_segment_fixed_size: 0
    .sgpr_count:     18
    .sgpr_spill_count: 0
    .symbol:         _Z9dwtHaar1DPKfPfS1_jjjj.kd
    .uniform_work_group_size: 1
    .uses_dynamic_stack: false
    .vgpr_count:     11
    .vgpr_spill_count: 0
    .wavefront_size: 64
amdhsa.target:   amdgcn-amd-amdhsa--gfx906
amdhsa.version:
  - 1
  - 2
...

	.end_amdgpu_metadata
